;; amdgpu-corpus repo=ROCm/rocFFT kind=compiled arch=gfx906 opt=O3
	.text
	.amdgcn_target "amdgcn-amd-amdhsa--gfx906"
	.amdhsa_code_object_version 6
	.protected	fft_rtc_fwd_len135_factors_5_3_3_3_wgs_126_tpt_9_halfLds_sp_op_CI_CI_unitstride_sbrr_dirReg ; -- Begin function fft_rtc_fwd_len135_factors_5_3_3_3_wgs_126_tpt_9_halfLds_sp_op_CI_CI_unitstride_sbrr_dirReg
	.globl	fft_rtc_fwd_len135_factors_5_3_3_3_wgs_126_tpt_9_halfLds_sp_op_CI_CI_unitstride_sbrr_dirReg
	.p2align	8
	.type	fft_rtc_fwd_len135_factors_5_3_3_3_wgs_126_tpt_9_halfLds_sp_op_CI_CI_unitstride_sbrr_dirReg,@function
fft_rtc_fwd_len135_factors_5_3_3_3_wgs_126_tpt_9_halfLds_sp_op_CI_CI_unitstride_sbrr_dirReg: ; @fft_rtc_fwd_len135_factors_5_3_3_3_wgs_126_tpt_9_halfLds_sp_op_CI_CI_unitstride_sbrr_dirReg
; %bb.0:
	v_mul_u32_u24_e32 v1, 0x1c72, v0
	s_load_dwordx4 s[8:11], s[4:5], 0x58
	s_load_dwordx4 s[12:15], s[4:5], 0x0
	;; [unrolled: 1-line block ×3, first 2 shown]
	v_lshrrev_b32_e32 v1, 16, v1
	v_mad_u64_u32 v[9:10], s[0:1], s6, 14, v[1:2]
	v_mov_b32_e32 v5, 0
	s_waitcnt lgkmcnt(0)
	v_cmp_lt_u64_e64 s[0:1], s[14:15], 2
	v_mov_b32_e32 v36, 0
	v_mov_b32_e32 v10, v5
	;; [unrolled: 1-line block ×5, first 2 shown]
	s_and_b64 vcc, exec, s[0:1]
	v_mov_b32_e32 v2, v37
	v_mov_b32_e32 v4, v10
	s_cbranch_vccnz .LBB0_8
; %bb.1:
	s_load_dwordx2 s[0:1], s[4:5], 0x10
	s_add_u32 s2, s18, 8
	s_addc_u32 s3, s19, 0
	s_add_u32 s6, s16, 8
	s_addc_u32 s7, s17, 0
	v_mov_b32_e32 v36, 0
	s_waitcnt lgkmcnt(0)
	s_add_u32 s20, s0, 8
	v_mov_b32_e32 v37, 0
	v_mov_b32_e32 v1, v36
	;; [unrolled: 1-line block ×3, first 2 shown]
	s_addc_u32 s21, s1, 0
	s_mov_b64 s[22:23], 1
	v_mov_b32_e32 v2, v37
	v_mov_b32_e32 v8, v10
.LBB0_2:                                ; =>This Inner Loop Header: Depth=1
	s_load_dwordx2 s[24:25], s[20:21], 0x0
                                        ; implicit-def: $vgpr3_vgpr4
	s_waitcnt lgkmcnt(0)
	v_or_b32_e32 v6, s25, v8
	v_cmp_ne_u64_e32 vcc, 0, v[5:6]
	s_and_saveexec_b64 s[0:1], vcc
	s_xor_b64 s[26:27], exec, s[0:1]
	s_cbranch_execz .LBB0_4
; %bb.3:                                ;   in Loop: Header=BB0_2 Depth=1
	v_cvt_f32_u32_e32 v3, s24
	v_cvt_f32_u32_e32 v4, s25
	s_sub_u32 s0, 0, s24
	s_subb_u32 s1, 0, s25
	v_mac_f32_e32 v3, 0x4f800000, v4
	v_rcp_f32_e32 v3, v3
	v_mul_f32_e32 v3, 0x5f7ffffc, v3
	v_mul_f32_e32 v4, 0x2f800000, v3
	v_trunc_f32_e32 v4, v4
	v_mac_f32_e32 v3, 0xcf800000, v4
	v_cvt_u32_f32_e32 v4, v4
	v_cvt_u32_f32_e32 v3, v3
	v_mul_lo_u32 v6, s0, v4
	v_mul_hi_u32 v10, s0, v3
	v_mul_lo_u32 v12, s1, v3
	v_mul_lo_u32 v11, s0, v3
	v_add_u32_e32 v6, v10, v6
	v_add_u32_e32 v6, v6, v12
	v_mul_hi_u32 v10, v3, v11
	v_mul_lo_u32 v12, v3, v6
	v_mul_hi_u32 v14, v3, v6
	v_mul_hi_u32 v13, v4, v11
	v_mul_lo_u32 v11, v4, v11
	v_mul_hi_u32 v15, v4, v6
	v_add_co_u32_e32 v10, vcc, v10, v12
	v_addc_co_u32_e32 v12, vcc, 0, v14, vcc
	v_mul_lo_u32 v6, v4, v6
	v_add_co_u32_e32 v10, vcc, v10, v11
	v_addc_co_u32_e32 v10, vcc, v12, v13, vcc
	v_addc_co_u32_e32 v11, vcc, 0, v15, vcc
	v_add_co_u32_e32 v6, vcc, v10, v6
	v_addc_co_u32_e32 v10, vcc, 0, v11, vcc
	v_add_co_u32_e32 v3, vcc, v3, v6
	v_addc_co_u32_e32 v4, vcc, v4, v10, vcc
	v_mul_lo_u32 v6, s0, v4
	v_mul_hi_u32 v10, s0, v3
	v_mul_lo_u32 v11, s1, v3
	v_mul_lo_u32 v12, s0, v3
	v_add_u32_e32 v6, v10, v6
	v_add_u32_e32 v6, v6, v11
	v_mul_lo_u32 v13, v3, v6
	v_mul_hi_u32 v14, v3, v12
	v_mul_hi_u32 v15, v3, v6
	;; [unrolled: 1-line block ×3, first 2 shown]
	v_mul_lo_u32 v12, v4, v12
	v_mul_hi_u32 v10, v4, v6
	v_add_co_u32_e32 v13, vcc, v14, v13
	v_addc_co_u32_e32 v14, vcc, 0, v15, vcc
	v_mul_lo_u32 v6, v4, v6
	v_add_co_u32_e32 v12, vcc, v13, v12
	v_addc_co_u32_e32 v11, vcc, v14, v11, vcc
	v_addc_co_u32_e32 v10, vcc, 0, v10, vcc
	v_add_co_u32_e32 v6, vcc, v11, v6
	v_addc_co_u32_e32 v10, vcc, 0, v10, vcc
	v_add_co_u32_e32 v6, vcc, v3, v6
	v_addc_co_u32_e32 v10, vcc, v4, v10, vcc
	v_mad_u64_u32 v[3:4], s[0:1], v7, v10, 0
	v_mul_hi_u32 v11, v7, v6
	v_add_co_u32_e32 v12, vcc, v11, v3
	v_addc_co_u32_e32 v13, vcc, 0, v4, vcc
	v_mad_u64_u32 v[3:4], s[0:1], v8, v6, 0
	v_mad_u64_u32 v[10:11], s[0:1], v8, v10, 0
	v_add_co_u32_e32 v3, vcc, v12, v3
	v_addc_co_u32_e32 v3, vcc, v13, v4, vcc
	v_addc_co_u32_e32 v4, vcc, 0, v11, vcc
	v_add_co_u32_e32 v6, vcc, v3, v10
	v_addc_co_u32_e32 v10, vcc, 0, v4, vcc
	v_mul_lo_u32 v11, s25, v6
	v_mul_lo_u32 v12, s24, v10
	v_mad_u64_u32 v[3:4], s[0:1], s24, v6, 0
	v_add3_u32 v4, v4, v12, v11
	v_sub_u32_e32 v11, v8, v4
	v_mov_b32_e32 v12, s25
	v_sub_co_u32_e32 v3, vcc, v7, v3
	v_subb_co_u32_e64 v11, s[0:1], v11, v12, vcc
	v_subrev_co_u32_e64 v12, s[0:1], s24, v3
	v_subbrev_co_u32_e64 v11, s[0:1], 0, v11, s[0:1]
	v_cmp_le_u32_e64 s[0:1], s25, v11
	v_cndmask_b32_e64 v13, 0, -1, s[0:1]
	v_cmp_le_u32_e64 s[0:1], s24, v12
	v_cndmask_b32_e64 v12, 0, -1, s[0:1]
	v_cmp_eq_u32_e64 s[0:1], s25, v11
	v_cndmask_b32_e64 v11, v13, v12, s[0:1]
	v_add_co_u32_e64 v12, s[0:1], 2, v6
	v_addc_co_u32_e64 v13, s[0:1], 0, v10, s[0:1]
	v_add_co_u32_e64 v14, s[0:1], 1, v6
	v_addc_co_u32_e64 v15, s[0:1], 0, v10, s[0:1]
	v_subb_co_u32_e32 v4, vcc, v8, v4, vcc
	v_cmp_ne_u32_e64 s[0:1], 0, v11
	v_cmp_le_u32_e32 vcc, s25, v4
	v_cndmask_b32_e64 v11, v15, v13, s[0:1]
	v_cndmask_b32_e64 v13, 0, -1, vcc
	v_cmp_le_u32_e32 vcc, s24, v3
	v_cndmask_b32_e64 v3, 0, -1, vcc
	v_cmp_eq_u32_e32 vcc, s25, v4
	v_cndmask_b32_e32 v3, v13, v3, vcc
	v_cmp_ne_u32_e32 vcc, 0, v3
	v_cndmask_b32_e64 v3, v14, v12, s[0:1]
	v_cndmask_b32_e32 v4, v10, v11, vcc
	v_cndmask_b32_e32 v3, v6, v3, vcc
.LBB0_4:                                ;   in Loop: Header=BB0_2 Depth=1
	s_andn2_saveexec_b64 s[0:1], s[26:27]
	s_cbranch_execz .LBB0_6
; %bb.5:                                ;   in Loop: Header=BB0_2 Depth=1
	v_cvt_f32_u32_e32 v3, s24
	s_sub_i32 s26, 0, s24
	v_rcp_iflag_f32_e32 v3, v3
	v_mul_f32_e32 v3, 0x4f7ffffe, v3
	v_cvt_u32_f32_e32 v3, v3
	v_mul_lo_u32 v4, s26, v3
	v_mul_hi_u32 v4, v3, v4
	v_add_u32_e32 v3, v3, v4
	v_mul_hi_u32 v3, v7, v3
	v_mul_lo_u32 v4, v3, s24
	v_add_u32_e32 v6, 1, v3
	v_sub_u32_e32 v4, v7, v4
	v_subrev_u32_e32 v10, s24, v4
	v_cmp_le_u32_e32 vcc, s24, v4
	v_cndmask_b32_e32 v4, v4, v10, vcc
	v_cndmask_b32_e32 v3, v3, v6, vcc
	v_add_u32_e32 v6, 1, v3
	v_cmp_le_u32_e32 vcc, s24, v4
	v_cndmask_b32_e32 v3, v3, v6, vcc
	v_mov_b32_e32 v4, v5
.LBB0_6:                                ;   in Loop: Header=BB0_2 Depth=1
	s_or_b64 exec, exec, s[0:1]
	v_mul_lo_u32 v6, v4, s24
	v_mul_lo_u32 v12, v3, s25
	v_mad_u64_u32 v[10:11], s[0:1], v3, s24, 0
	s_load_dwordx2 s[0:1], s[6:7], 0x0
	s_load_dwordx2 s[24:25], s[2:3], 0x0
	v_add3_u32 v6, v11, v12, v6
	v_sub_co_u32_e32 v7, vcc, v7, v10
	v_subb_co_u32_e32 v6, vcc, v8, v6, vcc
	s_waitcnt lgkmcnt(0)
	v_mul_lo_u32 v8, s0, v6
	v_mul_lo_u32 v10, s1, v7
	v_mad_u64_u32 v[36:37], s[0:1], s0, v7, v[36:37]
	v_mul_lo_u32 v6, s24, v6
	v_mul_lo_u32 v11, s25, v7
	v_mad_u64_u32 v[1:2], s[0:1], s24, v7, v[1:2]
	s_add_u32 s22, s22, 1
	s_addc_u32 s23, s23, 0
	s_add_u32 s2, s2, 8
	v_add3_u32 v2, v11, v2, v6
	s_addc_u32 s3, s3, 0
	v_mov_b32_e32 v6, s14
	s_add_u32 s6, s6, 8
	v_mov_b32_e32 v7, s15
	s_addc_u32 s7, s7, 0
	v_cmp_ge_u64_e32 vcc, s[22:23], v[6:7]
	s_add_u32 s20, s20, 8
	v_add3_u32 v37, v10, v37, v8
	s_addc_u32 s21, s21, 0
	s_cbranch_vccnz .LBB0_8
; %bb.7:                                ;   in Loop: Header=BB0_2 Depth=1
	v_mov_b32_e32 v8, v4
	v_mov_b32_e32 v7, v3
	s_branch .LBB0_2
.LBB0_8:
	s_load_dwordx2 s[0:1], s[4:5], 0x28
	s_lshl_b64 s[6:7], s[14:15], 3
	s_add_u32 s2, s18, s6
	s_addc_u32 s3, s19, s7
                                        ; implicit-def: $vgpr38
	s_waitcnt lgkmcnt(0)
	v_cmp_gt_u64_e32 vcc, s[0:1], v[3:4]
	v_cmp_le_u64_e64 s[0:1], s[0:1], v[3:4]
	s_and_saveexec_b64 s[4:5], s[0:1]
	s_xor_b64 s[0:1], exec, s[4:5]
; %bb.9:
	s_mov_b32 s4, 0x1c71c71d
	v_mul_hi_u32 v5, v0, s4
                                        ; implicit-def: $vgpr36_vgpr37
	v_mul_u32_u24_e32 v5, 9, v5
	v_sub_u32_e32 v38, v0, v5
                                        ; implicit-def: $vgpr0
; %bb.10:
	s_or_saveexec_b64 s[4:5], s[0:1]
                                        ; implicit-def: $vgpr19
                                        ; implicit-def: $vgpr17
                                        ; implicit-def: $vgpr21
                                        ; implicit-def: $vgpr15
                                        ; implicit-def: $vgpr8
                                        ; implicit-def: $vgpr29
                                        ; implicit-def: $vgpr27
                                        ; implicit-def: $vgpr23
                                        ; implicit-def: $vgpr11
                                        ; implicit-def: $vgpr6
                                        ; implicit-def: $vgpr35
                                        ; implicit-def: $vgpr33
                                        ; implicit-def: $vgpr31
                                        ; implicit-def: $vgpr25
                                        ; implicit-def: $vgpr13
	s_xor_b64 exec, exec, s[4:5]
	s_cbranch_execz .LBB0_12
; %bb.11:
	s_add_u32 s0, s16, s6
	s_addc_u32 s1, s17, s7
	s_load_dwordx2 s[0:1], s[0:1], 0x0
	s_mov_b32 s6, 0x1c71c71d
	v_mul_hi_u32 v7, v0, s6
	s_waitcnt lgkmcnt(0)
	v_mul_lo_u32 v8, s1, v3
	v_mul_lo_u32 v10, s0, v4
	v_mad_u64_u32 v[5:6], s[0:1], s0, v3, 0
	v_mul_u32_u24_e32 v7, 9, v7
	v_sub_u32_e32 v38, v0, v7
	v_add3_u32 v6, v6, v10, v8
	v_lshlrev_b64 v[5:6], 3, v[5:6]
	v_mov_b32_e32 v0, s9
	v_add_co_u32_e64 v7, s[0:1], s8, v5
	v_addc_co_u32_e64 v0, s[0:1], v0, v6, s[0:1]
	v_lshlrev_b64 v[5:6], 3, v[36:37]
	v_add_co_u32_e64 v5, s[0:1], v7, v5
	v_addc_co_u32_e64 v0, s[0:1], v0, v6, s[0:1]
	v_lshlrev_b32_e32 v6, 3, v38
	v_add_co_u32_e64 v36, s[0:1], v5, v6
	v_addc_co_u32_e64 v37, s[0:1], 0, v0, s[0:1]
	global_load_dwordx2 v[12:13], v[36:37], off
	global_load_dwordx2 v[5:6], v[36:37], off offset:72
	global_load_dwordx2 v[10:11], v[36:37], off offset:288
	;; [unrolled: 1-line block ×14, first 2 shown]
.LBB0_12:
	s_or_b64 exec, exec, s[4:5]
	v_lshrrev_b32_e32 v0, 1, v9
	s_mov_b32 s0, 0x92492493
	v_mul_hi_u32 v0, v0, s0
	s_waitcnt vmcnt(11)
	v_add_f32_e32 v36, v24, v12
	s_waitcnt vmcnt(4)
	v_add_f32_e32 v37, v32, v30
	v_add_f32_e32 v36, v30, v36
	v_lshrrev_b32_e32 v0, 2, v0
	v_mul_lo_u32 v0, v0, 14
	v_add_f32_e32 v36, v32, v36
	v_fma_f32 v37, -0.5, v37, v12
	s_waitcnt vmcnt(2)
	v_add_f32_e32 v39, v34, v36
	v_sub_u32_e32 v0, v9, v0
	v_mul_u32_u24_e32 v0, 0x87, v0
	v_sub_f32_e32 v9, v24, v30
	v_sub_f32_e32 v36, v34, v32
	;; [unrolled: 1-line block ×3, first 2 shown]
	v_mov_b32_e32 v42, v37
	v_add_f32_e32 v40, v36, v9
	v_fmac_f32_e32 v42, 0x3f737871, v41
	v_sub_f32_e32 v43, v31, v33
	v_lshlrev_b32_e32 v36, 2, v0
	v_fmac_f32_e32 v42, 0x3f167918, v43
	v_add_u32_e32 v9, 0, v36
	v_fmac_f32_e32 v42, 0x3e9e377a, v40
	v_mad_u32_u24 v53, v38, 20, v9
	ds_write2_b32 v53, v39, v42 offset1:1
	v_add_f32_e32 v42, v26, v22
	v_sub_f32_e32 v0, v10, v22
	s_waitcnt vmcnt(1)
	v_sub_f32_e32 v39, v28, v26
	v_fma_f32 v42, -0.5, v42, v5
	v_add_f32_e32 v0, v39, v0
	v_add_f32_e32 v39, v10, v5
	v_sub_f32_e32 v44, v11, v29
	v_mov_b32_e32 v45, v42
	v_add_f32_e32 v39, v22, v39
	v_fmac_f32_e32 v45, 0x3f737871, v44
	v_sub_f32_e32 v46, v23, v27
	v_add_f32_e32 v39, v26, v39
	v_fmac_f32_e32 v45, 0x3f167918, v46
	v_fmac_f32_e32 v37, 0xbf737871, v41
	;; [unrolled: 1-line block ×3, first 2 shown]
	v_add_f32_e32 v39, v28, v39
	v_fmac_f32_e32 v45, 0x3e9e377a, v0
	v_fmac_f32_e32 v37, 0xbf167918, v43
	;; [unrolled: 1-line block ×3, first 2 shown]
	ds_write2_b32 v53, v39, v45 offset0:45 offset1:46
	v_fmac_f32_e32 v37, 0x3e9e377a, v40
	v_fmac_f32_e32 v42, 0x3e9e377a, v0
	v_add_f32_e32 v39, v16, v20
	ds_write2_b32 v53, v37, v42 offset0:4 offset1:49
	v_sub_f32_e32 v0, v14, v20
	s_waitcnt vmcnt(0)
	v_sub_f32_e32 v37, v18, v16
	v_fma_f32 v39, -0.5, v39, v7
	v_add_f32_e32 v0, v37, v0
	v_add_f32_e32 v37, v14, v7
	v_sub_f32_e32 v40, v15, v19
	v_mov_b32_e32 v42, v39
	v_add_f32_e32 v37, v20, v37
	v_fmac_f32_e32 v42, 0x3f737871, v40
	v_sub_f32_e32 v45, v21, v17
	v_add_f32_e32 v37, v16, v37
	v_fmac_f32_e32 v42, 0x3f167918, v45
	v_add_f32_e32 v37, v18, v37
	v_fmac_f32_e32 v42, 0x3e9e377a, v0
	ds_write2_b32 v53, v37, v42 offset0:90 offset1:91
	v_add_f32_e32 v37, v34, v24
	v_fmac_f32_e32 v12, -0.5, v37
	v_sub_f32_e32 v37, v30, v24
	v_sub_f32_e32 v42, v32, v34
	v_add_f32_e32 v37, v42, v37
	v_mov_b32_e32 v42, v12
	v_fmac_f32_e32 v42, 0xbf737871, v43
	v_fmac_f32_e32 v12, 0x3f737871, v43
	v_fmac_f32_e32 v42, 0x3f167918, v41
	v_fmac_f32_e32 v12, 0xbf167918, v41
	v_fmac_f32_e32 v42, 0x3e9e377a, v37
	v_fmac_f32_e32 v12, 0x3e9e377a, v37
	v_add_f32_e32 v37, v33, v31
	v_add_f32_e32 v41, v35, v25
	v_fma_f32 v37, -0.5, v37, v13
	v_add_f32_e32 v54, v25, v13
	v_fmac_f32_e32 v13, -0.5, v41
	v_sub_f32_e32 v30, v30, v32
	v_mov_b32_e32 v32, v13
	v_sub_f32_e32 v41, v31, v25
	v_sub_f32_e32 v43, v33, v35
	v_fmac_f32_e32 v32, 0x3f737871, v30
	v_sub_f32_e32 v34, v24, v34
	v_fmac_f32_e32 v13, 0xbf737871, v30
	v_add_f32_e32 v41, v43, v41
	v_fmac_f32_e32 v32, 0xbf167918, v34
	v_fmac_f32_e32 v13, 0x3f167918, v34
	v_add_f32_e32 v24, v28, v10
	v_fmac_f32_e32 v32, 0x3e9e377a, v41
	v_fmac_f32_e32 v13, 0x3e9e377a, v41
	v_fmac_f32_e32 v5, -0.5, v24
	v_sub_f32_e32 v24, v22, v10
	v_sub_f32_e32 v41, v26, v28
	v_add_f32_e32 v24, v41, v24
	v_mov_b32_e32 v41, v5
	v_fmac_f32_e32 v39, 0xbf737871, v40
	v_fmac_f32_e32 v41, 0xbf737871, v46
	;; [unrolled: 1-line block ×7, first 2 shown]
	v_add_f32_e32 v0, v18, v14
	v_fmac_f32_e32 v41, 0x3e9e377a, v24
	v_fmac_f32_e32 v5, 0x3e9e377a, v24
	v_fmac_f32_e32 v7, -0.5, v0
	v_sub_f32_e32 v0, v20, v14
	v_sub_f32_e32 v24, v16, v18
	v_add_f32_e32 v0, v24, v0
	v_mov_b32_e32 v24, v7
	v_fmac_f32_e32 v24, 0xbf737871, v45
	v_fmac_f32_e32 v7, 0x3f737871, v45
	;; [unrolled: 1-line block ×6, first 2 shown]
	ds_write2_b32 v53, v42, v12 offset0:2 offset1:3
	ds_write2_b32 v53, v41, v5 offset0:47 offset1:48
	;; [unrolled: 1-line block ×3, first 2 shown]
	ds_write_b32 v53, v39 offset:376
	v_lshlrev_b32_e32 v5, 2, v38
	v_add_u32_e32 v0, v9, v5
	s_load_dwordx2 s[2:3], s[2:3], 0x0
	s_waitcnt lgkmcnt(0)
	s_barrier
	v_add3_u32 v24, 0, v5, v36
	ds_read_b32 v55, v0
	ds_read2_b32 v[39:40], v24 offset0:45 offset1:54
	ds_read2_b32 v[41:42], v24 offset0:81 offset1:90
	;; [unrolled: 1-line block ×7, first 2 shown]
	s_waitcnt lgkmcnt(0)
	s_barrier
	ds_write2_b32 v53, v32, v13 offset0:2 offset1:3
	v_add_f32_e32 v13, v11, v6
	v_add_f32_e32 v13, v23, v13
	;; [unrolled: 1-line block ×3, first 2 shown]
	v_sub_f32_e32 v5, v25, v31
	v_add_f32_e32 v25, v27, v23
	v_sub_f32_e32 v22, v22, v26
	v_sub_f32_e32 v26, v11, v23
	;; [unrolled: 1-line block ×4, first 2 shown]
	v_add_f32_e32 v11, v29, v11
	v_sub_f32_e32 v28, v29, v27
	v_sub_f32_e32 v27, v27, v29
	v_add_f32_e32 v13, v29, v13
	v_add_f32_e32 v29, v15, v8
	;; [unrolled: 1-line block ×3, first 2 shown]
	v_sub_f32_e32 v12, v35, v33
	v_sub_f32_e32 v14, v14, v18
	v_add_f32_e32 v18, v17, v29
	v_add_f32_e32 v7, v31, v54
	;; [unrolled: 1-line block ×3, first 2 shown]
	v_sub_f32_e32 v16, v20, v16
	v_sub_f32_e32 v20, v15, v21
	;; [unrolled: 1-line block ×3, first 2 shown]
	v_add_f32_e32 v15, v19, v15
	v_sub_f32_e32 v29, v19, v17
	v_sub_f32_e32 v17, v17, v19
	v_add_f32_e32 v18, v19, v18
	v_add_f32_e32 v5, v12, v5
	v_mov_b32_e32 v12, v37
	v_fma_f32 v19, -0.5, v25, v6
	v_fmac_f32_e32 v12, 0xbf737871, v34
	v_fmac_f32_e32 v37, 0x3f737871, v34
	v_mov_b32_e32 v25, v19
	v_fmac_f32_e32 v6, -0.5, v11
	v_fmac_f32_e32 v12, 0xbf167918, v30
	v_fmac_f32_e32 v37, 0x3f167918, v30
	;; [unrolled: 1-line block ×4, first 2 shown]
	v_mov_b32_e32 v11, v6
	v_fmac_f32_e32 v12, 0x3e9e377a, v5
	v_fmac_f32_e32 v37, 0x3e9e377a, v5
	v_add_f32_e32 v5, v28, v26
	v_fmac_f32_e32 v25, 0xbf167918, v22
	v_fmac_f32_e32 v19, 0x3f167918, v22
	;; [unrolled: 1-line block ×6, first 2 shown]
	v_add_f32_e32 v5, v27, v23
	v_fmac_f32_e32 v11, 0xbf167918, v10
	v_fmac_f32_e32 v6, 0x3f167918, v10
	v_fma_f32 v10, -0.5, v31, v8
	v_fmac_f32_e32 v11, 0x3e9e377a, v5
	v_fmac_f32_e32 v6, 0x3e9e377a, v5
	v_add_f32_e32 v5, v29, v20
	v_mov_b32_e32 v20, v10
	v_fmac_f32_e32 v8, -0.5, v15
	v_fmac_f32_e32 v20, 0xbf737871, v14
	v_fmac_f32_e32 v10, 0x3f737871, v14
	v_mov_b32_e32 v15, v8
	v_fmac_f32_e32 v20, 0xbf167918, v16
	v_fmac_f32_e32 v10, 0x3f167918, v16
	;; [unrolled: 1-line block ×6, first 2 shown]
	v_add_f32_e32 v5, v17, v21
	v_fmac_f32_e32 v15, 0xbf167918, v14
	v_fmac_f32_e32 v8, 0x3f167918, v14
	v_add_f32_e32 v7, v33, v7
	v_fmac_f32_e32 v15, 0x3e9e377a, v5
	v_fmac_f32_e32 v8, 0x3e9e377a, v5
	v_add_u32_e32 v5, -5, v38
	v_cmp_gt_u32_e64 s[0:1], 5, v38
	v_add_f32_e32 v7, v35, v7
	v_cndmask_b32_e64 v31, v5, v38, s[0:1]
	ds_write2_b32 v53, v7, v12 offset1:1
	ds_write2_b32 v53, v13, v25 offset0:45 offset1:46
	ds_write2_b32 v53, v11, v6 offset0:47 offset1:48
	;; [unrolled: 1-line block ×5, first 2 shown]
	ds_write_b32 v53, v10 offset:376
	v_lshlrev_b32_e32 v5, 1, v31
	v_mov_b32_e32 v6, 0
	v_lshlrev_b64 v[7:8], 3, v[5:6]
	v_mov_b32_e32 v11, s13
	v_add_co_u32_e64 v7, s[0:1], s12, v7
	v_addc_co_u32_e64 v8, s[0:1], v11, v8, s[0:1]
	s_waitcnt lgkmcnt(0)
	s_barrier
	global_load_dwordx4 v[12:15], v[7:8], off
	v_add_u32_e32 v23, 9, v38
	s_movk_i32 s0, 0xcd
	v_mul_lo_u16_sdwa v5, v23, s0 dst_sel:DWORD dst_unused:UNUSED_PAD src0_sel:BYTE_0 src1_sel:DWORD
	v_lshrrev_b16_e32 v5, 10, v5
	v_mul_lo_u16_e32 v7, 5, v5
	v_sub_u16_e32 v32, v23, v7
	v_mov_b32_e32 v10, 4
	v_lshlrev_b32_sdwa v7, v10, v32 dst_sel:DWORD dst_unused:UNUSED_PAD src0_sel:DWORD src1_sel:BYTE_0
	global_load_dwordx4 v[16:19], v7, s[12:13]
	v_add_u32_e32 v25, 18, v38
	v_mul_lo_u16_sdwa v7, v25, s0 dst_sel:DWORD dst_unused:UNUSED_PAD src0_sel:BYTE_0 src1_sel:DWORD
	v_lshrrev_b16_e32 v33, 10, v7
	v_mul_lo_u16_e32 v7, 5, v33
	v_sub_u16_e32 v34, v25, v7
	v_lshlrev_b32_sdwa v7, v10, v34 dst_sel:DWORD dst_unused:UNUSED_PAD src0_sel:DWORD src1_sel:BYTE_0
	global_load_dwordx4 v[27:30], v7, s[12:13]
	ds_read2_b32 v[7:8], v24 offset0:45 offset1:54
	ds_read2_b32 v[20:21], v24 offset0:81 offset1:90
	v_add_u32_e32 v26, 27, v38
	v_mad_u32_u24 v5, v5, 60, 0
	s_waitcnt vmcnt(2)
	v_mul_f32_e32 v37, v39, v13
	s_waitcnt lgkmcnt(1)
	v_mul_f32_e32 v22, v7, v13
	v_fmac_f32_e32 v37, v7, v12
	s_waitcnt lgkmcnt(0)
	v_mul_f32_e32 v7, v21, v15
	v_fma_f32 v35, v39, v12, -v22
	v_fma_f32 v39, v42, v14, -v7
	v_mul_f32_e32 v42, v42, v15
	v_fmac_f32_e32 v42, v21, v14
	ds_read2_b32 v[21:22], v24 offset0:99 offset1:108
	s_waitcnt vmcnt(1)
	v_mul_f32_e32 v7, v8, v17
	v_fma_f32 v53, v40, v16, -v7
	v_mul_f32_e32 v54, v40, v17
	v_mul_f32_e32 v57, v43, v19
	s_waitcnt lgkmcnt(0)
	v_mul_f32_e32 v7, v21, v19
	v_fma_f32 v56, v43, v18, -v7
	v_mul_lo_u16_sdwa v7, v26, s0 dst_sel:DWORD dst_unused:UNUSED_PAD src0_sel:BYTE_0 src1_sel:DWORD
	v_lshrrev_b16_e32 v40, 10, v7
	v_mul_lo_u16_e32 v7, 5, v40
	v_sub_u16_e32 v43, v26, v7
	v_lshlrev_b32_sdwa v7, v10, v43 dst_sel:DWORD dst_unused:UNUSED_PAD src0_sel:DWORD src1_sel:BYTE_0
	v_fmac_f32_e32 v54, v8, v16
	global_load_dwordx4 v[12:15], v7, s[12:13]
	ds_read2_b32 v[7:8], v24 offset0:63 offset1:72
	s_waitcnt vmcnt(1)
	v_mul_f32_e32 v16, v22, v30
	v_fma_f32 v58, v44, v29, -v16
	v_mul_f32_e32 v30, v44, v30
	v_fmac_f32_e32 v30, v22, v29
	s_waitcnt lgkmcnt(0)
	v_mul_f32_e32 v16, v7, v28
	v_mul_f32_e32 v28, v47, v28
	v_fma_f32 v29, v47, v27, -v16
	v_fmac_f32_e32 v28, v7, v27
	v_add_u32_e32 v27, 36, v38
	v_mul_lo_u16_sdwa v7, v27, s0 dst_sel:DWORD dst_unused:UNUSED_PAD src0_sel:BYTE_0 src1_sel:DWORD
	v_lshrrev_b16_e32 v44, 10, v7
	v_mul_lo_u16_e32 v7, 5, v44
	v_sub_u16_e32 v47, v27, v7
	v_lshlrev_b32_sdwa v7, v10, v47 dst_sel:DWORD dst_unused:UNUSED_PAD src0_sel:DWORD src1_sel:BYTE_0
	v_fmac_f32_e32 v57, v21, v18
	global_load_dwordx4 v[16:19], v7, s[12:13]
	ds_read2_b32 v[21:22], v24 offset0:117 offset1:126
	v_cmp_lt_u32_e64 s[0:1], 4, v38
	s_waitcnt vmcnt(1)
	v_mul_f32_e32 v7, v8, v13
	v_fma_f32 v59, v48, v12, -v7
	s_waitcnt lgkmcnt(0)
	v_mul_f32_e32 v7, v21, v15
	v_mul_f32_e32 v60, v48, v13
	v_fma_f32 v61, v51, v14, -v7
	v_mul_f32_e32 v15, v51, v15
	v_fmac_f32_e32 v60, v8, v12
	v_fmac_f32_e32 v15, v21, v14
	v_add_f32_e32 v8, v35, v39
	v_lshlrev_b32_e32 v12, 2, v31
	v_sub_f32_e32 v21, v37, v42
	s_waitcnt vmcnt(0)
	v_mul_f32_e32 v7, v20, v17
	v_fma_f32 v14, v41, v16, -v7
	v_mul_f32_e32 v17, v41, v17
	v_mul_f32_e32 v7, v22, v19
	v_fmac_f32_e32 v17, v20, v16
	v_fma_f32 v16, v52, v18, -v7
	v_mul_f32_e32 v19, v52, v19
	v_add_f32_e32 v7, v55, v35
	v_fmac_f32_e32 v55, -0.5, v8
	v_cndmask_b32_e64 v8, 0, 60, s[0:1]
	v_fmac_f32_e32 v19, v22, v18
	v_add_u32_e32 v8, 0, v8
	v_mov_b32_e32 v22, v55
	v_add3_u32 v18, v8, v12, v36
	v_add_f32_e32 v20, v7, v39
	v_fmac_f32_e32 v22, 0x3f5db3d7, v21
	ds_read_b32 v31, v0
	ds_read2_b32 v[7:8], v24 offset0:9 offset1:18
	ds_read2_b32 v[12:13], v24 offset0:27 offset1:36
	s_waitcnt lgkmcnt(0)
	s_barrier
	ds_write2_b32 v18, v20, v22 offset1:5
	v_fmac_f32_e32 v55, 0xbf5db3d7, v21
	v_mov_b32_e32 v22, 2
	v_add_f32_e32 v21, v53, v56
	v_lshlrev_b32_sdwa v20, v22, v32 dst_sel:DWORD dst_unused:UNUSED_PAD src0_sel:DWORD src1_sel:BYTE_0
	v_fma_f32 v21, -0.5, v21, v45
	v_add3_u32 v5, v5, v20, v36
	v_add_f32_e32 v20, v45, v53
	v_sub_f32_e32 v32, v54, v57
	v_mov_b32_e32 v41, v21
	v_add_f32_e32 v20, v20, v56
	v_fmac_f32_e32 v41, 0x3f5db3d7, v32
	v_fmac_f32_e32 v21, 0xbf5db3d7, v32
	v_add_f32_e32 v32, v29, v58
	ds_write_b32 v18, v55 offset:40
	ds_write2_b32 v5, v20, v41 offset1:5
	v_add_f32_e32 v20, v46, v29
	v_fmac_f32_e32 v46, -0.5, v32
	ds_write_b32 v5, v21 offset:40
	v_mad_u32_u24 v21, v33, 60, 0
	v_lshlrev_b32_sdwa v32, v22, v34 dst_sel:DWORD dst_unused:UNUSED_PAD src0_sel:DWORD src1_sel:BYTE_0
	v_add3_u32 v32, v21, v32, v36
	v_sub_f32_e32 v21, v28, v30
	v_mov_b32_e32 v33, v46
	v_add_f32_e32 v20, v20, v58
	v_fmac_f32_e32 v33, 0x3f5db3d7, v21
	ds_write2_b32 v32, v20, v33 offset1:5
	v_fmac_f32_e32 v46, 0xbf5db3d7, v21
	v_mad_u32_u24 v20, v40, 60, 0
	v_lshlrev_b32_sdwa v21, v22, v43 dst_sel:DWORD dst_unused:UNUSED_PAD src0_sel:DWORD src1_sel:BYTE_0
	v_add3_u32 v33, v20, v21, v36
	v_add_f32_e32 v21, v59, v61
	v_fma_f32 v21, -0.5, v21, v49
	v_add_f32_e32 v20, v49, v59
	v_sub_f32_e32 v34, v60, v15
	v_mov_b32_e32 v40, v21
	v_add_f32_e32 v20, v20, v61
	v_fmac_f32_e32 v40, 0x3f5db3d7, v34
	v_fmac_f32_e32 v21, 0xbf5db3d7, v34
	v_add_f32_e32 v34, v14, v16
	ds_write_b32 v32, v46 offset:40
	ds_write2_b32 v33, v20, v40 offset1:5
	v_add_f32_e32 v20, v50, v14
	v_fmac_f32_e32 v50, -0.5, v34
	ds_write_b32 v33, v21 offset:40
	v_mad_u32_u24 v21, v44, 60, 0
	v_lshlrev_b32_sdwa v34, v22, v47 dst_sel:DWORD dst_unused:UNUSED_PAD src0_sel:DWORD src1_sel:BYTE_0
	v_add3_u32 v34, v21, v34, v36
	v_sub_f32_e32 v21, v17, v19
	v_mov_b32_e32 v40, v50
	v_add_f32_e32 v20, v20, v16
	v_fmac_f32_e32 v40, 0x3f5db3d7, v21
	ds_write2_b32 v34, v20, v40 offset1:5
	v_add_f32_e32 v20, v31, v37
	v_add_f32_e32 v51, v20, v42
	;; [unrolled: 1-line block ×3, first 2 shown]
	v_fmac_f32_e32 v31, -0.5, v20
	v_sub_f32_e32 v35, v35, v39
	v_fmac_f32_e32 v50, 0xbf5db3d7, v21
	v_mov_b32_e32 v37, v31
	v_fmac_f32_e32 v31, 0x3f5db3d7, v35
	ds_write_b32 v34, v50 offset:40
	v_fmac_f32_e32 v37, 0xbf5db3d7, v35
	s_waitcnt lgkmcnt(0)
	s_barrier
	ds_read_b32 v55, v0
	ds_read2_b32 v[20:21], v24 offset0:45 offset1:54
	ds_read2_b32 v[39:40], v24 offset0:81 offset1:90
	;; [unrolled: 1-line block ×7, first 2 shown]
	s_waitcnt lgkmcnt(0)
	s_barrier
	ds_write_b32 v18, v31 offset:40
	v_add_f32_e32 v31, v54, v57
	ds_write2_b32 v18, v51, v37 offset1:5
	v_add_f32_e32 v18, v7, v54
	v_sub_f32_e32 v35, v53, v56
	v_fma_f32 v7, -0.5, v31, v7
	v_mov_b32_e32 v31, v7
	v_fmac_f32_e32 v7, 0x3f5db3d7, v35
	v_add_f32_e32 v18, v18, v57
	v_fmac_f32_e32 v31, 0xbf5db3d7, v35
	ds_write_b32 v5, v7 offset:40
	v_add_f32_e32 v7, v28, v30
	ds_write2_b32 v5, v18, v31 offset1:5
	v_add_f32_e32 v5, v8, v28
	v_fmac_f32_e32 v8, -0.5, v7
	v_sub_f32_e32 v7, v29, v58
	v_mov_b32_e32 v18, v8
	v_fmac_f32_e32 v18, 0xbf5db3d7, v7
	v_fmac_f32_e32 v8, 0x3f5db3d7, v7
	v_add_f32_e32 v7, v60, v15
	v_add_f32_e32 v5, v5, v30
	v_fma_f32 v7, -0.5, v7, v12
	ds_write2_b32 v32, v5, v18 offset1:5
	ds_write_b32 v32, v8 offset:40
	v_add_f32_e32 v5, v12, v60
	v_sub_f32_e32 v8, v59, v61
	v_mov_b32_e32 v12, v7
	v_add_f32_e32 v5, v5, v15
	v_fmac_f32_e32 v12, 0xbf5db3d7, v8
	v_fmac_f32_e32 v7, 0x3f5db3d7, v8
	v_add_f32_e32 v8, v17, v19
	ds_write2_b32 v33, v5, v12 offset1:5
	v_add_f32_e32 v5, v13, v17
	v_fmac_f32_e32 v13, -0.5, v8
	v_add_f32_e32 v5, v5, v19
	v_sub_f32_e32 v8, v14, v16
	v_mov_b32_e32 v12, v13
	v_fmac_f32_e32 v12, 0xbf5db3d7, v8
	v_fmac_f32_e32 v13, 0x3f5db3d7, v8
	ds_write_b32 v33, v7 offset:40
	ds_write2_b32 v34, v5, v12 offset1:5
	ds_write_b32 v34, v13 offset:40
	v_lshlrev_b32_e32 v5, 1, v38
	v_lshlrev_b64 v[7:8], 3, v[5:6]
	s_waitcnt lgkmcnt(0)
	v_add_co_u32_e64 v7, s[0:1], s12, v7
	v_addc_co_u32_e64 v8, s[0:1], v11, v8, s[0:1]
	s_barrier
	global_load_dwordx4 v[12:15], v[7:8], off offset:80
	v_add_u32_e32 v16, -6, v38
	v_cmp_gt_u32_e64 s[0:1], 6, v38
	v_cndmask_b32_e64 v37, v16, v23, s[0:1]
	v_lshlrev_b32_e32 v16, 1, v37
	v_mov_b32_e32 v17, v6
	ds_read2_b32 v[51:52], v24 offset0:45 offset1:54
	v_lshlrev_b64 v[16:17], 3, v[16:17]
	v_add_u32_e32 v5, 6, v5
	v_add_co_u32_e64 v16, s[0:1], s12, v16
	v_addc_co_u32_e64 v17, s[0:1], v11, v17, s[0:1]
	global_load_dwordx4 v[16:19], v[16:17], off offset:80
	ds_read2_b32 v[53:54], v24 offset0:81 offset1:90
	s_waitcnt vmcnt(1) lgkmcnt(1)
	v_mul_f32_e32 v28, v51, v13
	v_fma_f32 v56, v20, v12, -v28
	v_mul_f32_e32 v20, v20, v13
	v_fmac_f32_e32 v20, v51, v12
	v_lshlrev_b64 v[12:13], 3, v[5:6]
	s_waitcnt lgkmcnt(0)
	v_mul_f32_e32 v32, v54, v15
	v_add_co_u32_e64 v12, s[0:1], s12, v12
	v_addc_co_u32_e64 v13, s[0:1], v11, v13, s[0:1]
	s_movk_i32 s0, 0x89
	global_load_dwordx4 v[28:31], v[12:13], off offset:80
	v_mul_lo_u16_sdwa v11, v26, s0 dst_sel:DWORD dst_unused:UNUSED_PAD src0_sel:BYTE_0 src1_sel:DWORD
	v_fma_f32 v5, v40, v14, -v32
	v_mul_f32_e32 v40, v40, v15
	v_lshrrev_b16_e32 v51, 11, v11
	v_mul_lo_u16_e32 v11, 15, v51
	v_fmac_f32_e32 v40, v54, v14
	v_mul_lo_u16_sdwa v14, v27, s0 dst_sel:DWORD dst_unused:UNUSED_PAD src0_sel:BYTE_0 src1_sel:DWORD
	v_sub_u16_e32 v57, v26, v11
	v_lshrrev_b16_e32 v14, 11, v14
	v_lshlrev_b32_sdwa v10, v10, v57 dst_sel:DWORD dst_unused:UNUSED_PAD src0_sel:DWORD src1_sel:BYTE_0
	v_mul_lo_u16_e32 v14, 15, v14
	global_load_dwordx4 v[10:13], v10, s[12:13] offset:80
	v_sub_u16_e32 v14, v27, v14
	v_and_b32_e32 v54, 0xff, v14
	v_lshlrev_b32_e32 v14, 4, v54
	global_load_dwordx4 v[32:35], v14, s[12:13] offset:80
	ds_read2_b32 v[14:15], v24 offset0:99 offset1:108
	s_waitcnt vmcnt(3)
	v_mul_f32_e32 v58, v52, v17
	v_mul_f32_e32 v59, v21, v17
	v_fma_f32 v58, v21, v16, -v58
	v_fmac_f32_e32 v59, v52, v16
	s_waitcnt lgkmcnt(0)
	v_mul_f32_e32 v16, v14, v19
	v_fma_f32 v52, v41, v18, -v16
	ds_read2_b32 v[16:17], v24 offset0:63 offset1:72
	v_mul_f32_e32 v41, v41, v19
	v_fmac_f32_e32 v41, v14, v18
	v_cmp_lt_u32_e64 s[0:1], 5, v38
	s_waitcnt vmcnt(2)
	v_mul_f32_e32 v14, v15, v31
	v_fma_f32 v60, v42, v30, -v14
	v_mul_f32_e32 v42, v42, v31
	s_waitcnt lgkmcnt(0)
	v_mul_f32_e32 v14, v16, v29
	v_fmac_f32_e32 v42, v15, v30
	v_fma_f32 v61, v45, v28, -v14
	ds_read2_b32 v[14:15], v24 offset0:117 offset1:126
	v_mul_f32_e32 v45, v45, v29
	v_fmac_f32_e32 v45, v16, v28
	s_waitcnt vmcnt(1)
	v_mul_f32_e32 v16, v17, v11
	v_fma_f32 v62, v46, v10, -v16
	v_mul_f32_e32 v46, v46, v11
	v_fmac_f32_e32 v46, v17, v10
	s_waitcnt lgkmcnt(0)
	v_mul_f32_e32 v10, v14, v13
	v_fma_f32 v63, v49, v12, -v10
	s_waitcnt vmcnt(0)
	v_mul_f32_e32 v10, v53, v33
	v_fma_f32 v64, v39, v32, -v10
	v_mul_f32_e32 v10, v15, v35
	v_add_f32_e32 v11, v56, v5
	v_mul_f32_e32 v49, v49, v13
	v_mul_f32_e32 v33, v39, v33
	v_fma_f32 v39, v50, v34, -v10
	v_add_f32_e32 v10, v55, v56
	v_fmac_f32_e32 v55, -0.5, v11
	v_fmac_f32_e32 v49, v14, v12
	v_sub_f32_e32 v11, v20, v40
	v_mov_b32_e32 v12, v55
	v_mul_f32_e32 v35, v50, v35
	v_add_f32_e32 v10, v10, v5
	v_fmac_f32_e32 v12, 0x3f5db3d7, v11
	v_fmac_f32_e32 v33, v53, v32
	;; [unrolled: 1-line block ×3, first 2 shown]
	ds_read_b32 v34, v0
	ds_read2_b32 v[29:30], v24 offset0:9 offset1:18
	ds_read2_b32 v[31:32], v24 offset0:27 offset1:36
	s_waitcnt lgkmcnt(0)
	s_barrier
	ds_write2_b32 v24, v10, v12 offset1:15
	v_mov_b32_e32 v10, 0xb4
	v_cndmask_b32_e64 v10, 0, v10, s[0:1]
	v_fmac_f32_e32 v55, 0xbf5db3d7, v11
	v_add_u32_e32 v10, 0, v10
	v_lshlrev_b32_e32 v11, 2, v37
	v_add3_u32 v37, v10, v11, v36
	v_add_f32_e32 v11, v58, v52
	v_fma_f32 v11, -0.5, v11, v43
	v_add_f32_e32 v10, v43, v58
	v_sub_f32_e32 v12, v59, v41
	v_mov_b32_e32 v13, v11
	v_add_f32_e32 v10, v10, v52
	v_fmac_f32_e32 v13, 0x3f5db3d7, v12
	v_fmac_f32_e32 v11, 0xbf5db3d7, v12
	v_add_f32_e32 v12, v61, v60
	ds_write_b32 v24, v55 offset:120
	ds_write2_b32 v37, v10, v13 offset1:15
	v_add_f32_e32 v10, v44, v61
	v_fmac_f32_e32 v44, -0.5, v12
	ds_write_b32 v37, v11 offset:120
	v_sub_f32_e32 v11, v45, v42
	v_mov_b32_e32 v12, v44
	v_add_f32_e32 v10, v10, v60
	v_fmac_f32_e32 v12, 0x3f5db3d7, v11
	s_movk_i32 s0, 0xb4
	ds_write2_b32 v24, v10, v12 offset0:48 offset1:63
	v_fmac_f32_e32 v44, 0xbf5db3d7, v11
	v_lshlrev_b32_sdwa v10, v22, v57 dst_sel:DWORD dst_unused:UNUSED_PAD src0_sel:DWORD src1_sel:BYTE_0
	v_mad_u32_u24 v11, v51, s0, 0
	v_add3_u32 v36, v11, v10, v36
	v_add_f32_e32 v11, v62, v63
	v_fma_f32 v11, -0.5, v11, v47
	v_add_f32_e32 v10, v47, v62
	v_sub_f32_e32 v12, v46, v49
	v_mov_b32_e32 v13, v11
	v_add_f32_e32 v10, v10, v63
	v_fmac_f32_e32 v13, 0x3f5db3d7, v12
	v_fmac_f32_e32 v11, 0xbf5db3d7, v12
	v_add_f32_e32 v12, v64, v39
	ds_write_b32 v24, v44 offset:312
	ds_write2_b32 v36, v10, v13 offset1:15
	v_add_f32_e32 v10, v48, v64
	v_fmac_f32_e32 v48, -0.5, v12
	ds_write_b32 v36, v11 offset:120
	v_lshl_add_u32 v43, v54, 2, v9
	v_add_f32_e32 v9, v10, v39
	v_sub_f32_e32 v10, v33, v35
	v_mov_b32_e32 v11, v48
	v_fmac_f32_e32 v11, 0x3f5db3d7, v10
	ds_write2_b32 v43, v9, v11 offset0:90 offset1:105
	v_add_f32_e32 v9, v34, v20
	v_add_f32_e32 v44, v9, v40
	;; [unrolled: 1-line block ×3, first 2 shown]
	v_fmac_f32_e32 v34, -0.5, v9
	v_sub_f32_e32 v5, v56, v5
	v_mov_b32_e32 v40, v34
	v_fmac_f32_e32 v48, 0xbf5db3d7, v10
	v_fmac_f32_e32 v40, 0xbf5db3d7, v5
	ds_write_b32 v43, v48 offset:480
	s_waitcnt lgkmcnt(0)
	s_barrier
	ds_read_b32 v28, v0
	ds_read2_b32 v[11:12], v24 offset0:45 offset1:54
	ds_read2_b32 v[9:10], v24 offset0:81 offset1:90
	;; [unrolled: 1-line block ×7, first 2 shown]
	s_waitcnt lgkmcnt(0)
	s_barrier
	ds_write2_b32 v24, v44, v40 offset1:15
	v_fmac_f32_e32 v34, 0x3f5db3d7, v5
	v_add_f32_e32 v5, v29, v59
	v_add_f32_e32 v40, v59, v41
	;; [unrolled: 1-line block ×3, first 2 shown]
	v_sub_f32_e32 v41, v58, v52
	v_fma_f32 v29, -0.5, v40, v29
	ds_write_b32 v24, v34 offset:120
	v_mov_b32_e32 v34, v29
	v_fmac_f32_e32 v29, 0x3f5db3d7, v41
	v_fmac_f32_e32 v34, 0xbf5db3d7, v41
	ds_write_b32 v37, v29 offset:120
	v_add_f32_e32 v29, v45, v42
	ds_write2_b32 v37, v5, v34 offset1:15
	v_add_f32_e32 v5, v30, v45
	v_fmac_f32_e32 v30, -0.5, v29
	v_sub_f32_e32 v29, v61, v60
	v_mov_b32_e32 v34, v30
	v_fmac_f32_e32 v34, 0xbf5db3d7, v29
	v_fmac_f32_e32 v30, 0x3f5db3d7, v29
	v_add_f32_e32 v29, v46, v49
	v_add_f32_e32 v5, v5, v42
	v_fma_f32 v29, -0.5, v29, v31
	ds_write2_b32 v24, v5, v34 offset0:48 offset1:63
	ds_write_b32 v24, v30 offset:312
	v_add_f32_e32 v5, v31, v46
	v_sub_f32_e32 v30, v62, v63
	v_mov_b32_e32 v31, v29
	v_fmac_f32_e32 v31, 0xbf5db3d7, v30
	v_fmac_f32_e32 v29, 0x3f5db3d7, v30
	v_add_f32_e32 v30, v32, v33
	v_add_f32_e32 v33, v33, v35
	v_fmac_f32_e32 v32, -0.5, v33
	v_add_f32_e32 v5, v5, v49
	s_movk_i32 s0, 0x87
	v_sub_f32_e32 v33, v64, v39
	v_mov_b32_e32 v34, v32
	v_add_f32_e32 v30, v30, v35
	v_fmac_f32_e32 v34, 0xbf5db3d7, v33
	v_fmac_f32_e32 v32, 0x3f5db3d7, v33
	ds_write2_b32 v36, v5, v31 offset1:15
	ds_write_b32 v36, v29 offset:120
	ds_write2_b32 v43, v30, v34 offset0:90 offset1:105
	ds_write_b32 v43, v32 offset:480
	s_waitcnt lgkmcnt(0)
	s_barrier
	s_and_saveexec_b64 s[4:5], vcc
	s_cbranch_execz .LBB0_14
; %bb.13:
	v_lshlrev_b32_e32 v5, 1, v27
	v_lshlrev_b64 v[29:30], 3, v[5:6]
	v_lshlrev_b32_e32 v5, 1, v26
	v_mov_b32_e32 v37, s13
	v_add_co_u32_e32 v29, vcc, s12, v29
	v_lshlrev_b64 v[26:27], 3, v[5:6]
	v_addc_co_u32_e32 v30, vcc, v37, v30, vcc
	v_add_co_u32_e32 v26, vcc, s12, v26
	v_addc_co_u32_e32 v27, vcc, v37, v27, vcc
	v_lshlrev_b32_e32 v5, 1, v25
	global_load_dwordx4 v[33:36], v[26:27], off offset:320
	v_lshlrev_b64 v[25:26], 3, v[5:6]
	global_load_dwordx4 v[29:32], v[29:30], off offset:320
	v_add_co_u32_e32 v25, vcc, s12, v25
	v_addc_co_u32_e32 v26, vcc, v37, v26, vcc
	global_load_dwordx4 v[39:42], v[25:26], off offset:320
	v_lshlrev_b32_e32 v5, 1, v23
	v_lshlrev_b64 v[43:44], 3, v[5:6]
	ds_read2_b32 v[25:26], v24 offset0:81 offset1:90
	ds_read2_b32 v[51:52], v24 offset0:117 offset1:126
	v_add_co_u32_e32 v43, vcc, s12, v43
	v_addc_co_u32_e32 v44, vcc, v37, v44, vcc
	global_load_dwordx4 v[43:46], v[43:44], off offset:320
	v_mul_lo_u32 v27, s3, v3
	v_mul_lo_u32 v47, s2, v4
	v_mad_u64_u32 v[3:4], s[2:3], s2, v3, 0
	ds_read2_b32 v[53:54], v24 offset0:27 offset1:36
	ds_read2_b32 v[55:56], v24 offset0:63 offset1:72
	;; [unrolled: 1-line block ×3, first 2 shown]
	ds_read_b32 v0, v0
	v_add3_u32 v4, v4, v47, v27
	global_load_dwordx4 v[47:50], v[7:8], off offset:320
	s_mov_b32 s1, 0x6c16c16d
	v_lshlrev_b64 v[3:4], 3, v[3:4]
	v_add_co_u32_e32 v3, vcc, s10, v3
	s_waitcnt vmcnt(4)
	v_mul_f32_e32 v27, v21, v36
	s_waitcnt lgkmcnt(4)
	v_fmac_f32_e32 v27, v35, v51
	s_waitcnt vmcnt(3)
	v_mul_f32_e32 v5, v25, v30
	v_mul_f32_e32 v7, v52, v32
	;; [unrolled: 1-line block ×4, first 2 shown]
	v_fma_f32 v5, v9, v29, -v5
	v_fma_f32 v9, v22, v31, -v7
	v_fmac_f32_e32 v8, v29, v25
	v_mul_f32_e32 v22, v51, v36
	v_mul_f32_e32 v25, v18, v34
	v_fmac_f32_e32 v23, v31, v52
	s_waitcnt lgkmcnt(2)
	v_mul_f32_e32 v7, v56, v34
	v_sub_f32_e32 v34, v5, v9
	v_fma_f32 v31, v21, v35, -v22
	v_add_f32_e32 v22, v5, v9
	v_add_f32_e32 v5, v20, v5
	v_fmac_f32_e32 v25, v33, v56
	v_add_f32_e32 v29, v8, v23
	v_fma_f32 v18, v18, v33, -v7
	s_waitcnt vmcnt(2)
	v_mul_f32_e32 v30, v55, v40
	v_fma_f32 v7, -0.5, v22, v20
	v_add_f32_e32 v20, v5, v9
	v_add_f32_e32 v9, v25, v27
	;; [unrolled: 1-line block ×3, first 2 shown]
	v_sub_f32_e32 v36, v8, v23
	v_fma_f32 v8, -0.5, v29, v54
	v_add_f32_e32 v29, v25, v53
	v_add_f32_e32 v35, v18, v31
	v_fma_f32 v51, v17, v39, -v30
	v_fma_f32 v30, -0.5, v9, v53
	s_waitcnt lgkmcnt(1)
	v_mul_f32_e32 v33, v58, v42
	v_add_f32_e32 v21, v23, v21
	v_sub_f32_e32 v5, v18, v31
	v_add_f32_e32 v18, v19, v18
	v_mov_b32_e32 v23, v8
	v_add_f32_e32 v32, v27, v29
	v_fma_f32 v29, -0.5, v35, v19
	v_mov_b32_e32 v19, v30
	v_fmac_f32_e32 v8, 0xbf5db3d7, v34
	v_fmac_f32_e32 v23, 0x3f5db3d7, v34
	;; [unrolled: 1-line block ×4, first 2 shown]
	v_fma_f32 v5, v16, v41, -v33
	ds_read2_b32 v[33:34], v24 offset0:9 offset1:18
	v_mov_b32_e32 v22, v7
	v_sub_f32_e32 v25, v25, v27
	v_fmac_f32_e32 v7, 0x3f5db3d7, v36
	v_fmac_f32_e32 v22, 0xbf5db3d7, v36
	v_mul_f32_e32 v27, v17, v40
	v_mul_f32_e32 v36, v16, v42
	v_fmac_f32_e32 v27, v39, v55
	v_fmac_f32_e32 v36, v41, v58
	v_add_f32_e32 v16, v27, v36
	s_waitcnt lgkmcnt(0)
	v_fma_f32 v17, -0.5, v16, v34
	v_sub_f32_e32 v9, v51, v5
	v_mov_b32_e32 v35, v17
	v_add_f32_e32 v31, v18, v31
	v_mov_b32_e32 v18, v29
	v_fmac_f32_e32 v35, 0x3f5db3d7, v9
	v_fmac_f32_e32 v17, 0xbf5db3d7, v9
	v_add_f32_e32 v9, v27, v34
	v_fmac_f32_e32 v29, 0x3f5db3d7, v25
	v_fmac_f32_e32 v18, 0xbf5db3d7, v25
	v_add_f32_e32 v25, v36, v9
	v_add_f32_e32 v9, v51, v5
	v_fma_f32 v16, -0.5, v9, v14
	v_sub_f32_e32 v9, v27, v36
	ds_read2_b32 v[36:37], v24 offset0:45 offset1:54
	v_mov_b32_e32 v34, v16
	v_fmac_f32_e32 v34, 0xbf5db3d7, v9
	v_fmac_f32_e32 v16, 0x3f5db3d7, v9
	v_add_f32_e32 v9, v14, v51
	v_add_f32_e32 v24, v9, v5
	s_waitcnt vmcnt(1) lgkmcnt(0)
	v_mul_f32_e32 v5, v37, v44
	v_fma_f32 v5, v12, v43, -v5
	v_mul_f32_e32 v12, v12, v44
	v_mul_f32_e32 v27, v15, v46
	;; [unrolled: 1-line block ×3, first 2 shown]
	v_fmac_f32_e32 v12, v43, v37
	v_fmac_f32_e32 v27, v45, v57
	v_fma_f32 v9, v15, v45, -v9
	v_add_f32_e32 v15, v12, v27
	v_fma_f32 v15, -0.5, v15, v33
	v_sub_f32_e32 v14, v5, v9
	v_mov_b32_e32 v40, v15
	v_fmac_f32_e32 v40, 0x3f5db3d7, v14
	v_fmac_f32_e32 v15, 0xbf5db3d7, v14
	v_add_f32_e32 v14, v12, v33
	v_add_f32_e32 v42, v27, v14
	;; [unrolled: 1-line block ×5, first 2 shown]
	s_waitcnt vmcnt(0)
	v_mul_f32_e32 v5, v36, v48
	v_fma_f32 v5, v11, v47, -v5
	v_mul_f32_e32 v11, v11, v48
	v_mul_f32_e32 v33, v10, v50
	;; [unrolled: 1-line block ×3, first 2 shown]
	v_fmac_f32_e32 v11, v47, v36
	v_fmac_f32_e32 v33, v49, v26
	v_fma_f32 v14, -0.5, v14, v13
	v_fma_f32 v13, v10, v49, -v9
	v_add_f32_e32 v10, v11, v33
	v_sub_f32_e32 v12, v12, v27
	v_mov_b32_e32 v39, v14
	v_fma_f32 v10, -0.5, v10, v0
	v_add_f32_e32 v0, v11, v0
	v_fmac_f32_e32 v39, 0xbf5db3d7, v12
	v_fmac_f32_e32 v14, 0x3f5db3d7, v12
	v_sub_f32_e32 v9, v5, v13
	v_mov_b32_e32 v12, v10
	v_add_f32_e32 v27, v33, v0
	v_add_f32_e32 v0, v5, v13
	v_fmac_f32_e32 v12, 0x3f5db3d7, v9
	v_fmac_f32_e32 v10, 0xbf5db3d7, v9
	v_fma_f32 v9, -0.5, v0, v28
	v_mul_hi_u32 v0, v38, s1
	v_sub_f32_e32 v26, v11, v33
	v_mov_b32_e32 v11, v9
	v_add_f32_e32 v5, v28, v5
	v_sub_u32_e32 v33, v38, v0
	v_lshrrev_b32_e32 v33, 1, v33
	v_add_u32_e32 v0, v33, v0
	v_lshrrev_b32_e32 v0, 5, v0
	v_mul_lo_u32 v0, v0, 45
	v_fmac_f32_e32 v11, 0xbf5db3d7, v26
	v_fmac_f32_e32 v9, 0x3f5db3d7, v26
	v_add_f32_e32 v26, v5, v13
	v_sub_u32_e32 v5, v38, v0
	v_mov_b32_e32 v0, s11
	v_addc_co_u32_e32 v4, vcc, v0, v4, vcc
	v_lshlrev_b64 v[0:1], 3, v[1:2]
	v_add_u32_e32 v2, 9, v38
	v_mul_hi_u32 v13, v2, s1
	v_add_co_u32_e32 v28, vcc, v3, v0
	v_addc_co_u32_e32 v4, vcc, v4, v1, vcc
	v_sub_u32_e32 v1, v2, v13
	v_lshrrev_b32_e32 v1, 1, v1
	v_add_u32_e32 v1, v1, v13
	v_lshrrev_b32_e32 v3, 5, v1
	v_lshlrev_b32_e32 v0, 3, v5
	v_mul_lo_u32 v5, v3, 45
	v_add_co_u32_e32 v0, vcc, v28, v0
	v_addc_co_u32_e32 v1, vcc, 0, v4, vcc
	v_sub_u32_e32 v2, v2, v5
	v_mad_u64_u32 v[2:3], s[2:3], v3, s0, v[2:3]
	v_mov_b32_e32 v3, v6
	global_store_dwordx2 v[0:1], v[26:27], off
	global_store_dwordx2 v[0:1], v[9:10], off offset:360
	global_store_dwordx2 v[0:1], v[11:12], off offset:720
	v_lshlrev_b64 v[0:1], 3, v[2:3]
	v_add_u32_e32 v5, 45, v2
	v_add_co_u32_e32 v0, vcc, v28, v0
	v_addc_co_u32_e32 v1, vcc, v4, v1, vcc
	v_add_u32_e32 v3, 18, v38
	global_store_dwordx2 v[0:1], v[41:42], off
	v_lshlrev_b64 v[0:1], 3, v[5:6]
	v_mul_hi_u32 v5, v3, s1
	v_add_co_u32_e32 v0, vcc, v28, v0
	v_addc_co_u32_e32 v1, vcc, v4, v1, vcc
	v_sub_u32_e32 v9, v3, v5
	v_lshrrev_b32_e32 v9, 1, v9
	v_add_u32_e32 v5, v9, v5
	v_lshrrev_b32_e32 v9, 5, v5
	v_mul_lo_u32 v10, v9, 45
	v_add_u32_e32 v5, 0x5a, v2
	global_store_dwordx2 v[0:1], v[14:15], off
	v_lshlrev_b64 v[0:1], 3, v[5:6]
	v_sub_u32_e32 v2, v3, v10
	v_mad_u64_u32 v[2:3], s[2:3], v9, s0, v[2:3]
	v_add_co_u32_e32 v0, vcc, v28, v0
	v_addc_co_u32_e32 v1, vcc, v4, v1, vcc
	v_mov_b32_e32 v3, v6
	global_store_dwordx2 v[0:1], v[39:40], off
	v_lshlrev_b64 v[0:1], 3, v[2:3]
	v_add_u32_e32 v5, 45, v2
	v_add_co_u32_e32 v0, vcc, v28, v0
	v_addc_co_u32_e32 v1, vcc, v4, v1, vcc
	v_add_u32_e32 v3, 27, v38
	global_store_dwordx2 v[0:1], v[24:25], off
	v_lshlrev_b64 v[0:1], 3, v[5:6]
	v_mul_hi_u32 v5, v3, s1
	v_add_co_u32_e32 v0, vcc, v28, v0
	v_addc_co_u32_e32 v1, vcc, v4, v1, vcc
	v_sub_u32_e32 v9, v3, v5
	v_lshrrev_b32_e32 v9, 1, v9
	v_add_u32_e32 v5, v9, v5
	v_lshrrev_b32_e32 v9, 5, v5
	v_mul_lo_u32 v10, v9, 45
	v_add_u32_e32 v5, 0x5a, v2
	global_store_dwordx2 v[0:1], v[16:17], off
	v_lshlrev_b64 v[0:1], 3, v[5:6]
	v_sub_u32_e32 v2, v3, v10
	v_mad_u64_u32 v[2:3], s[2:3], v9, s0, v[2:3]
	v_add_co_u32_e32 v0, vcc, v28, v0
	v_addc_co_u32_e32 v1, vcc, v4, v1, vcc
	v_mov_b32_e32 v3, v6
	global_store_dwordx2 v[0:1], v[34:35], off
	;; [unrolled: 24-line block ×3, first 2 shown]
	v_lshlrev_b64 v[0:1], 3, v[2:3]
	v_add_u32_e32 v5, 45, v2
	v_add_co_u32_e32 v0, vcc, v28, v0
	v_addc_co_u32_e32 v1, vcc, v4, v1, vcc
	global_store_dwordx2 v[0:1], v[20:21], off
	v_lshlrev_b64 v[0:1], 3, v[5:6]
	v_add_u32_e32 v5, 0x5a, v2
	v_add_co_u32_e32 v0, vcc, v28, v0
	v_addc_co_u32_e32 v1, vcc, v4, v1, vcc
	global_store_dwordx2 v[0:1], v[7:8], off
	v_lshlrev_b64 v[0:1], 3, v[5:6]
	v_add_co_u32_e32 v0, vcc, v28, v0
	v_addc_co_u32_e32 v1, vcc, v4, v1, vcc
	global_store_dwordx2 v[0:1], v[22:23], off
.LBB0_14:
	s_endpgm
	.section	.rodata,"a",@progbits
	.p2align	6, 0x0
	.amdhsa_kernel fft_rtc_fwd_len135_factors_5_3_3_3_wgs_126_tpt_9_halfLds_sp_op_CI_CI_unitstride_sbrr_dirReg
		.amdhsa_group_segment_fixed_size 0
		.amdhsa_private_segment_fixed_size 0
		.amdhsa_kernarg_size 104
		.amdhsa_user_sgpr_count 6
		.amdhsa_user_sgpr_private_segment_buffer 1
		.amdhsa_user_sgpr_dispatch_ptr 0
		.amdhsa_user_sgpr_queue_ptr 0
		.amdhsa_user_sgpr_kernarg_segment_ptr 1
		.amdhsa_user_sgpr_dispatch_id 0
		.amdhsa_user_sgpr_flat_scratch_init 0
		.amdhsa_user_sgpr_private_segment_size 0
		.amdhsa_uses_dynamic_stack 0
		.amdhsa_system_sgpr_private_segment_wavefront_offset 0
		.amdhsa_system_sgpr_workgroup_id_x 1
		.amdhsa_system_sgpr_workgroup_id_y 0
		.amdhsa_system_sgpr_workgroup_id_z 0
		.amdhsa_system_sgpr_workgroup_info 0
		.amdhsa_system_vgpr_workitem_id 0
		.amdhsa_next_free_vgpr 65
		.amdhsa_next_free_sgpr 28
		.amdhsa_reserve_vcc 1
		.amdhsa_reserve_flat_scratch 0
		.amdhsa_float_round_mode_32 0
		.amdhsa_float_round_mode_16_64 0
		.amdhsa_float_denorm_mode_32 3
		.amdhsa_float_denorm_mode_16_64 3
		.amdhsa_dx10_clamp 1
		.amdhsa_ieee_mode 1
		.amdhsa_fp16_overflow 0
		.amdhsa_exception_fp_ieee_invalid_op 0
		.amdhsa_exception_fp_denorm_src 0
		.amdhsa_exception_fp_ieee_div_zero 0
		.amdhsa_exception_fp_ieee_overflow 0
		.amdhsa_exception_fp_ieee_underflow 0
		.amdhsa_exception_fp_ieee_inexact 0
		.amdhsa_exception_int_div_zero 0
	.end_amdhsa_kernel
	.text
.Lfunc_end0:
	.size	fft_rtc_fwd_len135_factors_5_3_3_3_wgs_126_tpt_9_halfLds_sp_op_CI_CI_unitstride_sbrr_dirReg, .Lfunc_end0-fft_rtc_fwd_len135_factors_5_3_3_3_wgs_126_tpt_9_halfLds_sp_op_CI_CI_unitstride_sbrr_dirReg
                                        ; -- End function
	.section	.AMDGPU.csdata,"",@progbits
; Kernel info:
; codeLenInByte = 6972
; NumSgprs: 32
; NumVgprs: 65
; ScratchSize: 0
; MemoryBound: 0
; FloatMode: 240
; IeeeMode: 1
; LDSByteSize: 0 bytes/workgroup (compile time only)
; SGPRBlocks: 3
; VGPRBlocks: 16
; NumSGPRsForWavesPerEU: 32
; NumVGPRsForWavesPerEU: 65
; Occupancy: 3
; WaveLimiterHint : 1
; COMPUTE_PGM_RSRC2:SCRATCH_EN: 0
; COMPUTE_PGM_RSRC2:USER_SGPR: 6
; COMPUTE_PGM_RSRC2:TRAP_HANDLER: 0
; COMPUTE_PGM_RSRC2:TGID_X_EN: 1
; COMPUTE_PGM_RSRC2:TGID_Y_EN: 0
; COMPUTE_PGM_RSRC2:TGID_Z_EN: 0
; COMPUTE_PGM_RSRC2:TIDIG_COMP_CNT: 0
	.type	__hip_cuid_42ad024a2929ffc7,@object ; @__hip_cuid_42ad024a2929ffc7
	.section	.bss,"aw",@nobits
	.globl	__hip_cuid_42ad024a2929ffc7
__hip_cuid_42ad024a2929ffc7:
	.byte	0                               ; 0x0
	.size	__hip_cuid_42ad024a2929ffc7, 1

	.ident	"AMD clang version 19.0.0git (https://github.com/RadeonOpenCompute/llvm-project roc-6.4.0 25133 c7fe45cf4b819c5991fe208aaa96edf142730f1d)"
	.section	".note.GNU-stack","",@progbits
	.addrsig
	.addrsig_sym __hip_cuid_42ad024a2929ffc7
	.amdgpu_metadata
---
amdhsa.kernels:
  - .args:
      - .actual_access:  read_only
        .address_space:  global
        .offset:         0
        .size:           8
        .value_kind:     global_buffer
      - .offset:         8
        .size:           8
        .value_kind:     by_value
      - .actual_access:  read_only
        .address_space:  global
        .offset:         16
        .size:           8
        .value_kind:     global_buffer
      - .actual_access:  read_only
        .address_space:  global
        .offset:         24
        .size:           8
        .value_kind:     global_buffer
      - .actual_access:  read_only
        .address_space:  global
        .offset:         32
        .size:           8
        .value_kind:     global_buffer
      - .offset:         40
        .size:           8
        .value_kind:     by_value
      - .actual_access:  read_only
        .address_space:  global
        .offset:         48
        .size:           8
        .value_kind:     global_buffer
      - .actual_access:  read_only
        .address_space:  global
        .offset:         56
        .size:           8
        .value_kind:     global_buffer
      - .offset:         64
        .size:           4
        .value_kind:     by_value
      - .actual_access:  read_only
        .address_space:  global
        .offset:         72
        .size:           8
        .value_kind:     global_buffer
      - .actual_access:  read_only
        .address_space:  global
        .offset:         80
        .size:           8
        .value_kind:     global_buffer
      - .actual_access:  read_only
        .address_space:  global
        .offset:         88
        .size:           8
        .value_kind:     global_buffer
      - .actual_access:  write_only
        .address_space:  global
        .offset:         96
        .size:           8
        .value_kind:     global_buffer
    .group_segment_fixed_size: 0
    .kernarg_segment_align: 8
    .kernarg_segment_size: 104
    .language:       OpenCL C
    .language_version:
      - 2
      - 0
    .max_flat_workgroup_size: 126
    .name:           fft_rtc_fwd_len135_factors_5_3_3_3_wgs_126_tpt_9_halfLds_sp_op_CI_CI_unitstride_sbrr_dirReg
    .private_segment_fixed_size: 0
    .sgpr_count:     32
    .sgpr_spill_count: 0
    .symbol:         fft_rtc_fwd_len135_factors_5_3_3_3_wgs_126_tpt_9_halfLds_sp_op_CI_CI_unitstride_sbrr_dirReg.kd
    .uniform_work_group_size: 1
    .uses_dynamic_stack: false
    .vgpr_count:     65
    .vgpr_spill_count: 0
    .wavefront_size: 64
amdhsa.target:   amdgcn-amd-amdhsa--gfx906
amdhsa.version:
  - 1
  - 2
...

	.end_amdgpu_metadata
